;; amdgpu-corpus repo=ROCm/rocFFT kind=compiled arch=gfx906 opt=O3
	.text
	.amdgcn_target "amdgcn-amd-amdhsa--gfx906"
	.amdhsa_code_object_version 6
	.protected	bluestein_single_fwd_len960_dim1_dp_op_CI_CI ; -- Begin function bluestein_single_fwd_len960_dim1_dp_op_CI_CI
	.globl	bluestein_single_fwd_len960_dim1_dp_op_CI_CI
	.p2align	8
	.type	bluestein_single_fwd_len960_dim1_dp_op_CI_CI,@function
bluestein_single_fwd_len960_dim1_dp_op_CI_CI: ; @bluestein_single_fwd_len960_dim1_dp_op_CI_CI
; %bb.0:
	s_load_dwordx4 s[0:3], s[4:5], 0x28
	v_mul_u32_u24_e32 v1, 0x19a, v0
	v_add_u32_sdwa v124, s6, v1 dst_sel:DWORD dst_unused:UNUSED_PAD src0_sel:DWORD src1_sel:WORD_1
	v_mov_b32_e32 v125, 0
	s_waitcnt lgkmcnt(0)
	v_cmp_gt_u64_e32 vcc, s[0:1], v[124:125]
	s_and_saveexec_b64 s[0:1], vcc
	s_cbranch_execz .LBB0_23
; %bb.1:
	s_load_dwordx2 s[14:15], s[4:5], 0x0
	s_load_dwordx2 s[12:13], s[4:5], 0x38
	s_movk_i32 s0, 0xa0
	v_mul_lo_u16_sdwa v1, v1, s0 dst_sel:DWORD dst_unused:UNUSED_PAD src0_sel:WORD_1 src1_sel:DWORD
	v_sub_u16_e32 v150, v0, v1
	v_cmp_gt_u16_e64 s[0:1], 60, v150
	v_lshlrev_b32_e32 v149, 4, v150
	s_and_saveexec_b64 s[6:7], s[0:1]
	s_cbranch_execz .LBB0_3
; %bb.2:
	s_load_dwordx2 s[8:9], s[4:5], 0x18
	s_waitcnt lgkmcnt(0)
	s_load_dwordx4 s[8:11], s[8:9], 0x0
	s_waitcnt lgkmcnt(0)
	v_mad_u64_u32 v[0:1], s[16:17], s10, v124, 0
	v_mad_u64_u32 v[2:3], s[16:17], s8, v150, 0
	;; [unrolled: 1-line block ×4, first 2 shown]
	v_mov_b32_e32 v1, v4
	v_lshlrev_b64 v[0:1], 4, v[0:1]
	v_mov_b32_e32 v3, v5
	v_mov_b32_e32 v6, s3
	v_lshlrev_b64 v[2:3], 4, v[2:3]
	v_add_co_u32_e32 v0, vcc, s2, v0
	v_addc_co_u32_e32 v1, vcc, v6, v1, vcc
	v_add_co_u32_e32 v16, vcc, v0, v2
	v_addc_co_u32_e32 v17, vcc, v1, v3, vcc
	v_mov_b32_e32 v0, s15
	v_add_co_u32_e32 v110, vcc, s14, v149
	s_mul_i32 s2, s9, 0x3c0
	s_mul_hi_u32 s3, s8, 0x3c0
	v_addc_co_u32_e32 v111, vcc, 0, v0, vcc
	s_add_i32 s2, s3, s2
	s_mul_i32 s3, s8, 0x3c0
	v_mov_b32_e32 v0, s2
	v_add_co_u32_e32 v18, vcc, s3, v16
	v_addc_co_u32_e32 v19, vcc, v17, v0, vcc
	global_load_dwordx4 v[0:3], v[16:17], off
	global_load_dwordx4 v[4:7], v[18:19], off
	global_load_dwordx4 v[8:11], v149, s[14:15]
	global_load_dwordx4 v[12:15], v149, s[14:15] offset:960
	v_mov_b32_e32 v16, s2
	v_add_co_u32_e32 v32, vcc, s3, v18
	v_addc_co_u32_e32 v33, vcc, v19, v16, vcc
	v_add_co_u32_e32 v34, vcc, s3, v32
	v_addc_co_u32_e32 v35, vcc, v33, v16, vcc
	global_load_dwordx4 v[16:19], v[32:33], off
	global_load_dwordx4 v[20:23], v[34:35], off
	global_load_dwordx4 v[24:27], v149, s[14:15] offset:1920
	global_load_dwordx4 v[28:31], v149, s[14:15] offset:2880
	v_mov_b32_e32 v32, s2
	v_add_co_u32_e32 v40, vcc, s3, v34
	v_addc_co_u32_e32 v41, vcc, v35, v32, vcc
	v_mov_b32_e32 v42, s2
	v_add_co_u32_e32 v44, vcc, s3, v40
	v_addc_co_u32_e32 v45, vcc, v41, v42, vcc
	s_movk_i32 s8, 0x1000
	v_add_co_u32_e32 v68, vcc, s8, v110
	v_addc_co_u32_e32 v69, vcc, 0, v111, vcc
	global_load_dwordx4 v[32:35], v[40:41], off
	global_load_dwordx4 v[36:39], v149, s[14:15] offset:3840
	v_mov_b32_e32 v46, s2
	v_add_co_u32_e32 v56, vcc, s3, v44
	v_addc_co_u32_e32 v57, vcc, v45, v46, vcc
	v_mov_b32_e32 v58, s2
	v_add_co_u32_e32 v70, vcc, s3, v56
	v_addc_co_u32_e32 v71, vcc, v57, v58, vcc
	global_load_dwordx4 v[40:43], v[44:45], off
	s_nop 0
	global_load_dwordx4 v[44:47], v[56:57], off
	global_load_dwordx4 v[48:51], v[68:69], off offset:704
	global_load_dwordx4 v[52:55], v[68:69], off offset:1664
	s_nop 0
	global_load_dwordx4 v[56:59], v[70:71], off
	global_load_dwordx4 v[60:63], v[68:69], off offset:2624
	global_load_dwordx4 v[64:67], v[68:69], off offset:3584
	v_mov_b32_e32 v68, s2
	v_add_co_u32_e32 v72, vcc, s3, v70
	v_addc_co_u32_e32 v73, vcc, v71, v68, vcc
	v_mov_b32_e32 v74, s2
	v_add_co_u32_e32 v76, vcc, s3, v72
	v_addc_co_u32_e32 v77, vcc, v73, v74, vcc
	s_movk_i32 s8, 0x2000
	v_add_co_u32_e32 v104, vcc, s8, v110
	v_addc_co_u32_e32 v105, vcc, 0, v111, vcc
	v_mov_b32_e32 v78, s2
	v_add_co_u32_e32 v88, vcc, s3, v76
	v_addc_co_u32_e32 v89, vcc, v77, v78, vcc
	v_mov_b32_e32 v90, s2
	;; [unrolled: 3-line block ×3, first 2 shown]
	v_add_co_u32_e32 v106, vcc, s3, v92
	global_load_dwordx4 v[68:71], v[72:73], off
	v_addc_co_u32_e32 v107, vcc, v93, v94, vcc
	global_load_dwordx4 v[72:75], v[76:77], off
	s_nop 0
	global_load_dwordx4 v[76:79], v[88:89], off
	global_load_dwordx4 v[80:83], v[104:105], off offset:448
	global_load_dwordx4 v[84:87], v[104:105], off offset:1408
	v_add_co_u32_e32 v108, vcc, s3, v106
	global_load_dwordx4 v[88:91], v[92:93], off
	s_nop 0
	global_load_dwordx4 v[92:95], v[106:107], off
	global_load_dwordx4 v[96:99], v[104:105], off offset:2368
	global_load_dwordx4 v[100:103], v[104:105], off offset:3328
	v_mov_b32_e32 v104, s2
	v_addc_co_u32_e32 v109, vcc, v107, v104, vcc
	s_movk_i32 s8, 0x3000
	v_add_co_u32_e32 v125, vcc, s8, v110
	v_addc_co_u32_e32 v126, vcc, 0, v111, vcc
	v_mov_b32_e32 v110, s2
	v_add_co_u32_e32 v120, vcc, s3, v108
	v_addc_co_u32_e32 v121, vcc, v109, v110, vcc
	global_load_dwordx4 v[104:107], v[108:109], off
	s_nop 0
	global_load_dwordx4 v[108:111], v[120:121], off
	global_load_dwordx4 v[112:115], v[125:126], off offset:192
	global_load_dwordx4 v[116:119], v[125:126], off offset:1152
	v_mov_b32_e32 v122, s2
	v_add_co_u32_e32 v120, vcc, s3, v120
	v_addc_co_u32_e32 v121, vcc, v121, v122, vcc
	global_load_dwordx4 v[120:123], v[120:121], off
	s_nop 0
	global_load_dwordx4 v[125:128], v[125:126], off offset:2112
	s_waitcnt vmcnt(29)
	v_mul_f64 v[129:130], v[2:3], v[10:11]
	s_waitcnt vmcnt(28)
	v_mul_f64 v[131:132], v[6:7], v[14:15]
	v_mul_f64 v[14:15], v[4:5], v[14:15]
	;; [unrolled: 1-line block ×3, first 2 shown]
	v_fma_f64 v[0:1], v[0:1], v[8:9], v[129:130]
	s_waitcnt vmcnt(25)
	v_mul_f64 v[129:130], v[18:19], v[26:27]
	v_mul_f64 v[26:27], v[16:17], v[26:27]
	v_fma_f64 v[4:5], v[4:5], v[12:13], v[131:132]
	v_fma_f64 v[6:7], v[6:7], v[12:13], -v[14:15]
	s_waitcnt vmcnt(24)
	v_mul_f64 v[12:13], v[22:23], v[30:31]
	v_mul_f64 v[14:15], v[20:21], v[30:31]
	v_fma_f64 v[2:3], v[2:3], v[8:9], -v[10:11]
	s_waitcnt vmcnt(22)
	v_mul_f64 v[30:31], v[34:35], v[38:39]
	v_fma_f64 v[8:9], v[16:17], v[24:25], v[129:130]
	v_fma_f64 v[10:11], v[18:19], v[24:25], -v[26:27]
	v_mul_f64 v[18:19], v[32:33], v[38:39]
	s_waitcnt vmcnt(19)
	v_mul_f64 v[24:25], v[42:43], v[50:51]
	v_mul_f64 v[26:27], v[40:41], v[50:51]
	s_waitcnt vmcnt(18)
	v_mul_f64 v[38:39], v[46:47], v[54:55]
	v_fma_f64 v[12:13], v[20:21], v[28:29], v[12:13]
	v_fma_f64 v[14:15], v[22:23], v[28:29], -v[14:15]
	v_mul_f64 v[28:29], v[44:45], v[54:55]
	s_waitcnt vmcnt(16)
	v_mul_f64 v[50:51], v[58:59], v[62:63]
	v_mul_f64 v[54:55], v[56:57], v[62:63]
	v_fma_f64 v[16:17], v[32:33], v[36:37], v[30:31]
	v_fma_f64 v[18:19], v[34:35], v[36:37], -v[18:19]
	ds_write_b128 v149, v[0:3]
	ds_write_b128 v149, v[4:7] offset:960
	ds_write_b128 v149, v[8:11] offset:1920
	;; [unrolled: 1-line block ×4, first 2 shown]
	v_fma_f64 v[0:1], v[56:57], v[60:61], v[50:51]
	v_fma_f64 v[2:3], v[58:59], v[60:61], -v[54:55]
	v_fma_f64 v[20:21], v[40:41], v[48:49], v[24:25]
	v_fma_f64 v[22:23], v[42:43], v[48:49], -v[26:27]
	;; [unrolled: 2-line block ×3, first 2 shown]
	ds_write_b128 v149, v[0:3] offset:6720
	ds_write_b128 v149, v[20:23] offset:4800
	s_waitcnt vmcnt(14)
	v_mul_f64 v[4:5], v[70:71], v[66:67]
	v_mul_f64 v[6:7], v[68:69], v[66:67]
	ds_write_b128 v149, v[24:27] offset:5760
	s_waitcnt vmcnt(11)
	v_mul_f64 v[8:9], v[74:75], v[82:83]
	v_mul_f64 v[10:11], v[72:73], v[82:83]
	s_waitcnt vmcnt(10)
	v_mul_f64 v[12:13], v[78:79], v[86:87]
	v_mul_f64 v[14:15], v[76:77], v[86:87]
	;; [unrolled: 3-line block ×3, first 2 shown]
	v_fma_f64 v[4:5], v[68:69], v[64:65], v[4:5]
	v_fma_f64 v[6:7], v[70:71], v[64:65], -v[6:7]
	v_fma_f64 v[0:1], v[72:73], v[80:81], v[8:9]
	v_fma_f64 v[2:3], v[74:75], v[80:81], -v[10:11]
	;; [unrolled: 2-line block ×4, first 2 shown]
	s_waitcnt vmcnt(6)
	v_mul_f64 v[16:17], v[94:95], v[102:103]
	v_mul_f64 v[18:19], v[92:93], v[102:103]
	s_waitcnt vmcnt(3)
	v_mul_f64 v[20:21], v[106:107], v[114:115]
	v_mul_f64 v[22:23], v[104:105], v[114:115]
	;; [unrolled: 3-line block ×3, first 2 shown]
	v_fma_f64 v[16:17], v[92:93], v[100:101], v[16:17]
	v_fma_f64 v[18:19], v[94:95], v[100:101], -v[18:19]
	s_waitcnt vmcnt(0)
	v_mul_f64 v[28:29], v[122:123], v[127:128]
	v_mul_f64 v[30:31], v[120:121], v[127:128]
	v_fma_f64 v[20:21], v[104:105], v[112:113], v[20:21]
	v_fma_f64 v[22:23], v[106:107], v[112:113], -v[22:23]
	v_fma_f64 v[24:25], v[108:109], v[116:117], v[24:25]
	v_fma_f64 v[26:27], v[110:111], v[116:117], -v[26:27]
	;; [unrolled: 2-line block ×3, first 2 shown]
	ds_write_b128 v149, v[4:7] offset:7680
	ds_write_b128 v149, v[0:3] offset:8640
	;; [unrolled: 1-line block ×8, first 2 shown]
.LBB0_3:
	s_or_b64 exec, exec, s[6:7]
	s_waitcnt lgkmcnt(0)
	s_barrier
	s_waitcnt lgkmcnt(0)
                                        ; implicit-def: $vgpr0_vgpr1
                                        ; implicit-def: $vgpr20_vgpr21
                                        ; implicit-def: $vgpr32_vgpr33
                                        ; implicit-def: $vgpr52_vgpr53
                                        ; implicit-def: $vgpr60_vgpr61
                                        ; implicit-def: $vgpr48_vgpr49
                                        ; implicit-def: $vgpr56_vgpr57
                                        ; implicit-def: $vgpr36_vgpr37
                                        ; implicit-def: $vgpr44_vgpr45
                                        ; implicit-def: $vgpr40_vgpr41
                                        ; implicit-def: $vgpr28_vgpr29
                                        ; implicit-def: $vgpr16_vgpr17
                                        ; implicit-def: $vgpr24_vgpr25
                                        ; implicit-def: $vgpr8_vgpr9
                                        ; implicit-def: $vgpr12_vgpr13
                                        ; implicit-def: $vgpr4_vgpr5
	s_and_saveexec_b64 s[2:3], s[0:1]
	s_cbranch_execz .LBB0_5
; %bb.4:
	ds_read_b128 v[0:3], v149
	ds_read_b128 v[4:7], v149 offset:960
	ds_read_b128 v[12:15], v149 offset:1920
	ds_read_b128 v[8:11], v149 offset:2880
	ds_read_b128 v[24:27], v149 offset:3840
	ds_read_b128 v[16:19], v149 offset:4800
	ds_read_b128 v[20:23], v149 offset:5760
	ds_read_b128 v[28:31], v149 offset:6720
	ds_read_b128 v[40:43], v149 offset:7680
	ds_read_b128 v[32:35], v149 offset:8640
	ds_read_b128 v[44:47], v149 offset:9600
	ds_read_b128 v[36:39], v149 offset:10560
	ds_read_b128 v[56:59], v149 offset:11520
	ds_read_b128 v[48:51], v149 offset:12480
	ds_read_b128 v[60:63], v149 offset:13440
	ds_read_b128 v[52:55], v149 offset:14400
.LBB0_5:
	s_or_b64 exec, exec, s[2:3]
	s_waitcnt lgkmcnt(7)
	v_add_f64 v[42:43], v[2:3], -v[42:43]
	s_waitcnt lgkmcnt(3)
	v_add_f64 v[56:57], v[24:25], -v[56:57]
	v_add_f64 v[46:47], v[14:15], -v[46:47]
	s_waitcnt lgkmcnt(1)
	v_add_f64 v[60:61], v[20:21], -v[60:61]
	v_add_f64 v[40:41], v[0:1], -v[40:41]
	;; [unrolled: 1-line block ×6, first 2 shown]
	v_fma_f64 v[24:25], v[24:25], 2.0, -v[56:57]
	v_add_f64 v[48:49], v[16:17], -v[48:49]
	v_fma_f64 v[20:21], v[20:21], 2.0, -v[60:61]
	v_add_f64 v[50:51], v[18:19], -v[50:51]
	v_add_f64 v[36:37], v[8:9], -v[36:37]
	s_waitcnt lgkmcnt(0)
	v_add_f64 v[52:53], v[28:29], -v[52:53]
	v_add_f64 v[54:55], v[30:31], -v[54:55]
	v_add_f64 v[56:57], v[42:43], v[56:57]
	v_add_f64 v[60:61], v[60:61], v[46:47]
	v_fma_f64 v[0:1], v[0:1], 2.0, -v[40:41]
	v_fma_f64 v[2:3], v[2:3], 2.0, -v[42:43]
	;; [unrolled: 1-line block ×6, first 2 shown]
	v_add_f64 v[34:35], v[6:7], -v[34:35]
	v_add_f64 v[38:39], v[10:11], -v[38:39]
	v_fma_f64 v[4:5], v[4:5], 2.0, -v[32:33]
	v_fma_f64 v[16:17], v[16:17], 2.0, -v[48:49]
	;; [unrolled: 1-line block ×6, first 2 shown]
	v_add_f64 v[58:59], v[40:41], -v[58:59]
	v_add_f64 v[62:63], v[44:45], -v[62:63]
	v_fma_f64 v[42:43], v[42:43], 2.0, -v[56:57]
	v_fma_f64 v[46:47], v[46:47], 2.0, -v[60:61]
	v_add_f64 v[50:51], v[32:33], -v[50:51]
	v_add_f64 v[54:55], v[36:37], -v[54:55]
	s_mov_b32 s2, 0x667f3bcd
	s_mov_b32 s3, 0xbfe6a09e
	;; [unrolled: 1-line block ×4, first 2 shown]
	v_fma_f64 v[6:7], v[6:7], 2.0, -v[34:35]
	v_fma_f64 v[10:11], v[10:11], 2.0, -v[38:39]
	v_add_f64 v[24:25], v[0:1], -v[24:25]
	v_add_f64 v[20:21], v[12:13], -v[20:21]
	v_fma_f64 v[40:41], v[40:41], 2.0, -v[58:59]
	v_fma_f64 v[44:45], v[44:45], 2.0, -v[62:63]
	v_add_f64 v[16:17], v[4:5], -v[16:17]
	v_add_f64 v[48:49], v[48:49], v[34:35]
	v_add_f64 v[28:29], v[8:9], -v[28:29]
	v_add_f64 v[52:53], v[52:53], v[38:39]
	v_fma_f64 v[32:33], v[32:33], 2.0, -v[50:51]
	v_fma_f64 v[36:37], v[36:37], 2.0, -v[54:55]
	v_fma_f64 v[66:67], v[46:47], s[2:3], v[42:43]
	v_fma_f64 v[68:69], v[62:63], s[6:7], v[58:59]
	;; [unrolled: 1-line block ×3, first 2 shown]
	v_add_f64 v[26:27], v[2:3], -v[26:27]
	v_add_f64 v[22:23], v[14:15], -v[22:23]
	v_fma_f64 v[0:1], v[0:1], 2.0, -v[24:25]
	v_fma_f64 v[12:13], v[12:13], 2.0, -v[20:21]
	v_add_f64 v[18:19], v[6:7], -v[18:19]
	v_add_f64 v[30:31], v[10:11], -v[30:31]
	v_fma_f64 v[4:5], v[4:5], 2.0, -v[16:17]
	v_fma_f64 v[34:35], v[34:35], 2.0, -v[48:49]
	;; [unrolled: 1-line block ×4, first 2 shown]
	v_fma_f64 v[64:65], v[44:45], s[2:3], v[40:41]
	v_fma_f64 v[90:91], v[44:45], s[6:7], v[66:67]
	;; [unrolled: 1-line block ×5, first 2 shown]
	v_fma_f64 v[2:3], v[2:3], 2.0, -v[26:27]
	v_fma_f64 v[14:15], v[14:15], 2.0, -v[22:23]
	;; [unrolled: 1-line block ×4, first 2 shown]
	v_add_f64 v[12:13], v[0:1], -v[12:13]
	v_fma_f64 v[88:89], v[46:47], s[2:3], v[64:65]
	v_fma_f64 v[46:47], v[38:39], s[2:3], v[34:35]
	v_fma_f64 v[60:61], v[58:59], 2.0, -v[96:97]
	v_fma_f64 v[62:63], v[56:57], 2.0, -v[98:99]
	v_fma_f64 v[56:57], v[54:55], s[6:7], v[50:51]
	v_fma_f64 v[58:59], v[52:53], s[6:7], v[48:49]
	v_add_f64 v[8:9], v[4:5], -v[8:9]
	v_fma_f64 v[66:67], v[38:39], s[2:3], v[44:45]
	v_add_f64 v[14:15], v[2:3], -v[14:15]
	v_add_f64 v[22:23], v[24:25], -v[22:23]
	v_add_f64 v[20:21], v[26:27], v[20:21]
	v_fma_f64 v[0:1], v[0:1], 2.0, -v[12:13]
	v_fma_f64 v[40:41], v[40:41], 2.0, -v[88:89]
	v_add_f64 v[10:11], v[6:7], -v[10:11]
	v_fma_f64 v[64:65], v[36:37], s[6:7], v[46:47]
	v_add_f64 v[30:31], v[16:17], -v[30:31]
	v_add_f64 v[28:29], v[28:29], v[18:19]
	v_fma_f64 v[74:75], v[52:53], s[2:3], v[56:57]
	v_fma_f64 v[72:73], v[54:55], s[6:7], v[58:59]
	v_fma_f64 v[4:5], v[4:5], 2.0, -v[8:9]
	v_fma_f64 v[32:33], v[32:33], 2.0, -v[66:67]
	s_mov_b32 s8, 0xcf328d46
	s_mov_b32 s9, 0xbfed906b
	v_fma_f64 v[2:3], v[2:3], 2.0, -v[14:15]
	v_fma_f64 v[42:43], v[42:43], 2.0, -v[90:91]
	;; [unrolled: 1-line block ×10, first 2 shown]
	v_add_f64 v[56:57], v[0:1], -v[4:5]
	v_fma_f64 v[4:5], v[32:33], s[8:9], v[40:41]
	s_mov_b32 s10, 0xa6aea964
	s_mov_b32 s11, 0xbfd87de2
	v_add_f64 v[58:59], v[2:3], -v[6:7]
	v_fma_f64 v[6:7], v[34:35], s[8:9], v[42:43]
	v_fma_f64 v[44:45], v[16:17], s[2:3], v[24:25]
	;; [unrolled: 1-line block ×6, first 2 shown]
	s_mov_b32 s17, 0x3fd87de2
	s_mov_b32 s16, s10
	;; [unrolled: 1-line block ×4, first 2 shown]
	v_fma_f64 v[82:83], v[32:33], s[16:17], v[6:7]
	v_fma_f64 v[48:49], v[18:19], s[2:3], v[44:45]
	;; [unrolled: 1-line block ×5, first 2 shown]
	v_fma_f64 v[36:37], v[0:1], 2.0, -v[56:57]
	v_fma_f64 v[38:39], v[2:3], 2.0, -v[58:59]
	v_fma_f64 v[0:1], v[66:67], s[16:17], v[88:89]
	v_fma_f64 v[2:3], v[64:65], s[16:17], v[90:91]
	;; [unrolled: 1-line block ×6, first 2 shown]
	v_add_f64 v[68:69], v[12:13], -v[10:11]
	v_add_f64 v[70:71], v[14:15], v[8:9]
	v_fma_f64 v[64:65], v[64:65], s[8:9], v[0:1]
	v_fma_f64 v[66:67], v[66:67], s[18:19], v[2:3]
	;; [unrolled: 1-line block ×6, first 2 shown]
	v_fma_f64 v[40:41], v[40:41], 2.0, -v[80:81]
	v_fma_f64 v[42:43], v[42:43], 2.0, -v[82:83]
	;; [unrolled: 1-line block ×14, first 2 shown]
	s_load_dwordx2 s[8:9], s[4:5], 0x8
	v_lshlrev_b16_e32 v152, 4, v150
	s_waitcnt lgkmcnt(0)
	s_barrier
	s_and_saveexec_b64 s[2:3], s[0:1]
	s_cbranch_execz .LBB0_7
; %bb.6:
	v_lshlrev_b32_e32 v0, 4, v152
	ds_write_b128 v0, v[36:39]
	ds_write_b128 v0, v[40:43] offset:16
	ds_write_b128 v0, v[52:55] offset:32
	;; [unrolled: 1-line block ×15, first 2 shown]
.LBB0_7:
	s_or_b64 exec, exec, s[2:3]
	s_load_dwordx2 s[4:5], s[4:5], 0x20
	s_movk_i32 s2, 0x60
	v_cmp_gt_u16_e64 s[2:3], s2, v150
	s_waitcnt lgkmcnt(0)
	s_barrier
	s_and_saveexec_b64 s[6:7], s[2:3]
	s_cbranch_execz .LBB0_9
; %bb.8:
	ds_read_b128 v[36:39], v149
	ds_read_b128 v[40:43], v149 offset:1536
	ds_read_b128 v[52:55], v149 offset:3072
	ds_read_b128 v[60:63], v149 offset:4608
	ds_read_b128 v[84:87], v149 offset:6144
	ds_read_b128 v[88:91], v149 offset:7680
	ds_read_b128 v[92:95], v149 offset:9216
	ds_read_b128 v[96:99], v149 offset:10752
	ds_read_b128 v[56:59], v149 offset:12288
	ds_read_b128 v[80:83], v149 offset:13824
.LBB0_9:
	s_or_b64 exec, exec, s[6:7]
	v_mov_b32_e32 v0, s8
	v_and_b32_e32 v151, 15, v150
	s_movk_i32 s6, 0x90
	v_mov_b32_e32 v1, s9
	v_mad_u64_u32 v[100:101], s[6:7], v151, s6, v[0:1]
	global_load_dwordx4 v[0:3], v[100:101], off
	global_load_dwordx4 v[20:23], v[100:101], off offset:16
	global_load_dwordx4 v[4:7], v[100:101], off offset:32
	;; [unrolled: 1-line block ×8, first 2 shown]
	s_mov_b32 s6, 0x134454ff
	s_mov_b32 s7, 0x3fee6f0e
	;; [unrolled: 1-line block ×12, first 2 shown]
	s_waitcnt vmcnt(0) lgkmcnt(0)
	s_barrier
	v_mul_f64 v[100:101], v[42:43], v[2:3]
	v_mul_f64 v[102:103], v[40:41], v[2:3]
	;; [unrolled: 1-line block ×18, first 2 shown]
	v_fma_f64 v[100:101], v[40:41], v[0:1], -v[100:101]
	v_fma_f64 v[114:115], v[42:43], v[0:1], v[102:103]
	v_fma_f64 v[108:109], v[52:53], v[20:21], -v[104:105]
	v_fma_f64 v[118:119], v[54:55], v[20:21], v[106:107]
	;; [unrolled: 2-line block ×4, first 2 shown]
	v_fma_f64 v[60:61], v[92:93], v[24:25], -v[129:130]
	v_fma_f64 v[40:41], v[56:57], v[32:33], -v[137:138]
	v_fma_f64 v[62:63], v[94:95], v[24:25], v[131:132]
	v_fma_f64 v[52:53], v[58:59], v[32:33], v[139:140]
	v_fma_f64 v[106:107], v[88:89], v[16:17], -v[125:126]
	v_fma_f64 v[112:113], v[90:91], v[16:17], v[127:128]
	v_fma_f64 v[56:57], v[96:97], v[12:13], -v[133:134]
	;; [unrolled: 2-line block ×3, first 2 shown]
	v_fma_f64 v[54:55], v[82:83], v[28:29], v[143:144]
	v_add_f64 v[58:59], v[108:109], -v[102:103]
	v_add_f64 v[80:81], v[40:41], -v[60:61]
	;; [unrolled: 1-line block ×8, first 2 shown]
	v_add_f64 v[129:130], v[102:103], v[60:61]
	v_add_f64 v[131:132], v[108:109], v[40:41]
	;; [unrolled: 1-line block ×3, first 2 shown]
	v_add_f64 v[94:95], v[104:105], -v[106:107]
	v_add_f64 v[98:99], v[42:43], -v[56:57]
	;; [unrolled: 1-line block ×8, first 2 shown]
	v_add_f64 v[139:140], v[118:119], v[52:53]
	v_add_f64 v[141:142], v[108:109], -v[40:41]
	v_add_f64 v[145:146], v[106:107], v[56:57]
	v_add_f64 v[147:148], v[104:105], v[42:43]
	;; [unrolled: 1-line block ×5, first 2 shown]
	v_fma_f64 v[58:59], v[129:130], -0.5, v[36:37]
	v_add_f64 v[86:87], v[90:91], v[92:93]
	v_fma_f64 v[88:89], v[131:132], -0.5, v[36:37]
	v_fma_f64 v[92:93], v[137:138], -0.5, v[38:39]
	v_add_f64 v[143:144], v[102:103], -v[60:61]
	v_add_f64 v[153:154], v[116:117], -v[54:55]
	;; [unrolled: 1-line block ×3, first 2 shown]
	v_add_f64 v[157:158], v[112:113], v[96:97]
	v_add_f64 v[161:162], v[116:117], v[54:55]
	;; [unrolled: 1-line block ×5, first 2 shown]
	v_fma_f64 v[98:99], v[139:140], -0.5, v[38:39]
	v_fma_f64 v[120:121], v[145:146], -0.5, v[100:101]
	;; [unrolled: 1-line block ×3, first 2 shown]
	v_fma_f64 v[125:126], v[133:134], s[6:7], v[58:59]
	v_fma_f64 v[58:59], v[133:134], s[10:11], v[58:59]
	;; [unrolled: 1-line block ×5, first 2 shown]
	v_add_f64 v[159:160], v[104:105], -v[42:43]
	v_add_f64 v[163:164], v[106:107], -v[56:57]
	v_fma_f64 v[127:128], v[157:158], -0.5, v[114:115]
	v_fma_f64 v[129:130], v[161:162], -0.5, v[114:115]
	v_fma_f64 v[92:93], v[141:142], s[6:7], v[92:93]
	v_fma_f64 v[145:146], v[143:144], s[6:7], v[98:99]
	;; [unrolled: 1-line block ×24, first 2 shown]
	v_add_f64 v[80:81], v[112:113], -v[116:117]
	v_add_f64 v[82:83], v[96:97], -v[54:55]
	v_fma_f64 v[88:89], v[163:164], s[6:7], v[129:130]
	v_fma_f64 v[125:126], v[84:85], s[20:21], v[133:134]
	;; [unrolled: 1-line block ×7, first 2 shown]
	v_add_f64 v[80:81], v[80:81], v[82:83]
	v_fma_f64 v[82:83], v[159:160], s[18:19], v[88:89]
	v_fma_f64 v[131:132], v[86:87], s[20:21], v[141:142]
	;; [unrolled: 1-line block ×12, first 2 shown]
	v_mul_f64 v[86:87], v[88:89], s[16:17]
	v_mul_f64 v[137:138], v[92:93], s[18:19]
	;; [unrolled: 1-line block ×8, first 2 shown]
	v_fma_f64 v[133:134], v[92:93], s[22:23], v[86:87]
	v_fma_f64 v[141:142], v[88:89], s[22:23], v[137:138]
	;; [unrolled: 1-line block ×4, first 2 shown]
	v_fma_f64 v[137:138], v[80:81], s[6:7], -v[145:146]
	v_fma_f64 v[139:140], v[84:85], s[16:17], -v[153:154]
	;; [unrolled: 1-line block ×4, first 2 shown]
	v_add_f64 v[84:85], v[58:59], -v[133:134]
	v_add_f64 v[86:87], v[125:126], -v[141:142]
	v_add_f64 v[82:83], v[127:128], -v[143:144]
	v_add_f64 v[80:81], v[98:99], -v[135:136]
	v_add_f64 v[92:93], v[120:121], -v[137:138]
	v_add_f64 v[88:89], v[122:123], -v[139:140]
	v_add_f64 v[94:95], v[131:132], -v[145:146]
	v_add_f64 v[90:91], v[129:130], -v[147:148]
	v_lshrrev_b32_e32 v153, 4, v150
	s_and_saveexec_b64 s[6:7], s[2:3]
	s_cbranch_execz .LBB0_11
; %bb.10:
	v_add_f64 v[38:39], v[38:39], v[118:119]
	v_add_f64 v[114:115], v[114:115], v[116:117]
	;; [unrolled: 1-line block ×24, first 2 shown]
	v_mul_u32_u24_e32 v42, 0xa0, v153
	v_or_b32_e32 v42, v42, v151
	v_lshlrev_b32_e32 v98, 4, v42
	ds_write_b128 v98, v[84:87] offset:1536
	v_add_f64 v[60:61], v[52:53], v[62:63]
	v_add_f64 v[42:43], v[52:53], -v[62:63]
	v_add_f64 v[58:59], v[40:41], v[96:97]
	v_add_f64 v[40:41], v[40:41], -v[96:97]
	ds_write_b128 v98, v[80:83] offset:1792
	ds_write_b128 v98, v[92:95] offset:2048
	;; [unrolled: 1-line block ×6, first 2 shown]
	ds_write_b128 v98, v[58:61]
	ds_write_b128 v98, v[40:43] offset:1280
	ds_write_b128 v98, v[88:91] offset:2304
.LBB0_11:
	s_or_b64 exec, exec, s[6:7]
	v_mov_b32_e32 v37, s9
	s_movk_i32 s10, 0x50
	v_mov_b32_e32 v36, s8
	v_mad_u64_u32 v[96:97], s[8:9], v150, s10, v[36:37]
	s_load_dwordx4 s[4:7], s[4:5], 0x0
	s_waitcnt lgkmcnt(0)
	s_barrier
	global_load_dwordx4 v[36:39], v[96:97], off offset:2304
	global_load_dwordx4 v[52:55], v[96:97], off offset:2320
	;; [unrolled: 1-line block ×5, first 2 shown]
	ds_read_b128 v[96:99], v149
	ds_read_b128 v[100:103], v149 offset:2560
	ds_read_b128 v[104:107], v149 offset:5120
	;; [unrolled: 1-line block ×5, first 2 shown]
	s_mov_b32 s8, 0xe8584caa
	s_mov_b32 s9, 0x3febb67a
	;; [unrolled: 1-line block ×4, first 2 shown]
	s_waitcnt vmcnt(4) lgkmcnt(4)
	v_mul_f64 v[120:121], v[102:103], v[38:39]
	v_mul_f64 v[122:123], v[100:101], v[38:39]
	s_waitcnt vmcnt(2) lgkmcnt(2)
	v_mul_f64 v[127:128], v[110:111], v[42:43]
	v_mul_f64 v[129:130], v[108:109], v[42:43]
	;; [unrolled: 3-line block ×3, first 2 shown]
	v_mul_f64 v[125:126], v[106:107], v[54:55]
	v_mul_f64 v[135:136], v[104:105], v[54:55]
	s_waitcnt vmcnt(0)
	v_mul_f64 v[137:138], v[114:115], v[62:63]
	v_mul_f64 v[139:140], v[112:113], v[62:63]
	v_fma_f64 v[108:109], v[108:109], v[40:41], -v[127:128]
	v_fma_f64 v[110:111], v[110:111], v[40:41], v[129:130]
	v_fma_f64 v[118:119], v[118:119], v[56:57], v[131:132]
	v_fma_f64 v[116:117], v[116:117], v[56:57], -v[133:134]
	v_fma_f64 v[104:105], v[104:105], v[52:53], -v[125:126]
	;; [unrolled: 1-line block ×3, first 2 shown]
	v_fma_f64 v[102:103], v[102:103], v[36:37], v[122:123]
	v_fma_f64 v[106:107], v[106:107], v[52:53], v[135:136]
	v_fma_f64 v[112:113], v[112:113], v[60:61], -v[137:138]
	v_fma_f64 v[114:115], v[114:115], v[60:61], v[139:140]
	v_add_f64 v[120:121], v[110:111], v[118:119]
	v_add_f64 v[122:123], v[108:109], v[116:117]
	;; [unrolled: 1-line block ×3, first 2 shown]
	v_add_f64 v[133:134], v[110:111], -v[118:119]
	v_add_f64 v[135:136], v[108:109], -v[116:117]
	v_add_f64 v[131:132], v[98:99], v[106:107]
	v_add_f64 v[127:128], v[104:105], v[112:113]
	v_add_f64 v[129:130], v[106:107], -v[114:115]
	v_fma_f64 v[120:121], v[120:121], -0.5, v[102:103]
	v_fma_f64 v[122:123], v[122:123], -0.5, v[100:101]
	v_add_f64 v[106:107], v[106:107], v[114:115]
	v_add_f64 v[104:105], v[104:105], -v[112:113]
	v_add_f64 v[100:101], v[100:101], v[108:109]
	v_add_f64 v[102:103], v[102:103], v[110:111]
	;; [unrolled: 1-line block ×3, first 2 shown]
	v_fma_f64 v[96:97], v[127:128], -0.5, v[96:97]
	v_fma_f64 v[110:111], v[135:136], s[10:11], v[120:121]
	v_fma_f64 v[112:113], v[133:134], s[10:11], v[122:123]
	;; [unrolled: 1-line block ×4, first 2 shown]
	v_fma_f64 v[98:99], v[106:107], -0.5, v[98:99]
	v_add_f64 v[100:101], v[100:101], v[116:117]
	v_add_f64 v[102:103], v[102:103], v[118:119]
	;; [unrolled: 1-line block ×3, first 2 shown]
	v_mul_f64 v[106:107], v[110:111], s[8:9]
	v_mul_f64 v[116:117], v[112:113], -0.5
	v_mul_f64 v[118:119], v[122:123], s[10:11]
	v_mul_f64 v[125:126], v[120:121], -0.5
	v_fma_f64 v[127:128], v[129:130], s[8:9], v[96:97]
	v_fma_f64 v[129:130], v[129:130], s[10:11], v[96:97]
	v_fma_f64 v[131:132], v[104:105], s[10:11], v[98:99]
	v_fma_f64 v[133:134], v[104:105], s[8:9], v[98:99]
	v_fma_f64 v[122:123], v[122:123], 0.5, v[106:107]
	v_fma_f64 v[120:121], v[120:121], s[8:9], v[116:117]
	v_fma_f64 v[118:119], v[110:111], 0.5, v[118:119]
	v_fma_f64 v[125:126], v[112:113], s[10:11], v[125:126]
	v_add_f64 v[96:97], v[108:109], v[100:101]
	v_add_f64 v[98:99], v[114:115], v[102:103]
	v_add_f64 v[104:105], v[108:109], -v[100:101]
	v_add_f64 v[106:107], v[114:115], -v[102:103]
	v_add_f64 v[100:101], v[127:128], v[122:123]
	v_add_f64 v[108:109], v[129:130], v[120:121]
	;; [unrolled: 1-line block ×4, first 2 shown]
	v_add_f64 v[116:117], v[127:128], -v[122:123]
	v_add_f64 v[112:113], v[129:130], -v[120:121]
	;; [unrolled: 1-line block ×4, first 2 shown]
	ds_write_b128 v149, v[96:99]
	ds_write_b128 v149, v[104:107] offset:7680
	ds_write_b128 v149, v[100:103] offset:2560
	;; [unrolled: 1-line block ×5, first 2 shown]
	s_waitcnt lgkmcnt(0)
	s_barrier
	s_and_saveexec_b64 s[8:9], s[0:1]
	s_cbranch_execz .LBB0_13
; %bb.12:
	v_mov_b32_e32 v120, s15
	v_add_co_u32_e32 v182, vcc, s14, v149
	v_addc_co_u32_e32 v183, vcc, 0, v120, vcc
	v_add_co_u32_e32 v137, vcc, 0x3c00, v182
	v_addc_co_u32_e32 v138, vcc, 0, v183, vcc
	;; [unrolled: 2-line block ×3, first 2 shown]
	s_movk_i32 s11, 0x5000
	v_add_co_u32_e32 v162, vcc, s11, v182
	global_load_dwordx4 v[120:123], v[120:121], off offset:3072
	s_nop 0
	global_load_dwordx4 v[125:128], v[137:138], off offset:960
	global_load_dwordx4 v[129:132], v[137:138], off offset:1920
	;; [unrolled: 1-line block ×3, first 2 shown]
	s_nop 0
	global_load_dwordx4 v[137:140], v[137:138], off offset:3840
	s_movk_i32 s10, 0x4000
	v_addc_co_u32_e32 v163, vcc, 0, v183, vcc
	v_add_co_u32_e32 v158, vcc, s10, v182
	v_addc_co_u32_e32 v159, vcc, 0, v183, vcc
	global_load_dwordx4 v[141:144], v[162:163], off offset:640
	global_load_dwordx4 v[145:148], v[162:163], off offset:1600
	;; [unrolled: 1-line block ×3, first 2 shown]
	s_movk_i32 s10, 0x6000
	global_load_dwordx4 v[158:161], v[158:159], off offset:3776
	v_add_co_u32_e32 v178, vcc, s10, v182
	global_load_dwordx4 v[162:165], v[162:163], off offset:3520
	v_addc_co_u32_e32 v179, vcc, 0, v183, vcc
	global_load_dwordx4 v[166:169], v[178:179], off offset:384
	global_load_dwordx4 v[170:173], v[178:179], off offset:1344
	s_movk_i32 s10, 0x7000
	global_load_dwordx4 v[174:177], v[178:179], off offset:2304
	s_nop 0
	global_load_dwordx4 v[178:181], v[178:179], off offset:3264
	v_add_co_u32_e32 v186, vcc, s10, v182
	v_addc_co_u32_e32 v187, vcc, 0, v183, vcc
	global_load_dwordx4 v[182:185], v[186:187], off offset:128
	s_nop 0
	global_load_dwordx4 v[186:189], v[186:187], off offset:1088
	ds_read_b128 v[190:193], v149
	ds_read_b128 v[194:197], v149 offset:960
	ds_read_b128 v[198:201], v149 offset:1920
	;; [unrolled: 1-line block ×9, first 2 shown]
	s_waitcnt vmcnt(15) lgkmcnt(9)
	v_mul_f64 v[244:245], v[192:193], v[122:123]
	s_waitcnt vmcnt(14) lgkmcnt(8)
	v_mul_f64 v[230:231], v[196:197], v[127:128]
	v_mul_f64 v[127:128], v[194:195], v[127:128]
	s_waitcnt vmcnt(13) lgkmcnt(7)
	v_mul_f64 v[232:233], v[200:201], v[131:132]
	;; [unrolled: 3-line block ×4, first 2 shown]
	v_mul_f64 v[139:140], v[206:207], v[139:140]
	v_mul_f64 v[122:123], v[190:191], v[122:123]
	s_waitcnt vmcnt(10) lgkmcnt(3)
	v_mul_f64 v[238:239], v[216:217], v[143:144]
	v_mul_f64 v[143:144], v[214:215], v[143:144]
	s_waitcnt vmcnt(9) lgkmcnt(2)
	v_mul_f64 v[240:241], v[220:221], v[147:148]
	v_mul_f64 v[147:148], v[218:219], v[147:148]
	s_waitcnt vmcnt(7)
	v_mul_f64 v[246:247], v[212:213], v[160:161]
	v_mul_f64 v[160:161], v[210:211], v[160:161]
	v_fma_f64 v[194:195], v[194:195], v[125:126], -v[230:231]
	v_fma_f64 v[196:197], v[196:197], v[125:126], v[127:128]
	v_fma_f64 v[125:126], v[198:199], v[129:130], -v[232:233]
	v_fma_f64 v[127:128], v[200:201], v[129:130], v[131:132]
	;; [unrolled: 2-line block ×8, first 2 shown]
	ds_write_b128 v149, v[194:197] offset:960
	ds_write_b128 v149, v[125:128] offset:1920
	;; [unrolled: 1-line block ×5, first 2 shown]
	ds_write_b128 v149, v[190:193]
	ds_write_b128 v149, v[120:123] offset:4800
	ds_write_b128 v149, v[141:144] offset:6720
	ds_read_b128 v[120:123], v149 offset:9600
	ds_read_b128 v[125:128], v149 offset:10560
	s_waitcnt lgkmcnt(11)
	v_mul_f64 v[242:243], v[224:225], v[156:157]
	v_mul_f64 v[131:132], v[222:223], v[156:157]
	s_waitcnt vmcnt(6) lgkmcnt(10)
	v_mul_f64 v[133:134], v[228:229], v[164:165]
	s_waitcnt vmcnt(5) lgkmcnt(1)
	v_mul_f64 v[137:138], v[122:123], v[168:169]
	v_mul_f64 v[141:142], v[120:121], v[168:169]
	s_waitcnt vmcnt(4) lgkmcnt(0)
	v_mul_f64 v[143:144], v[127:128], v[172:173]
	v_mul_f64 v[145:146], v[125:126], v[172:173]
	;; [unrolled: 1-line block ×3, first 2 shown]
	v_fma_f64 v[129:130], v[222:223], v[154:155], -v[242:243]
	v_fma_f64 v[131:132], v[224:225], v[154:155], v[131:132]
	ds_read_b128 v[154:157], v149 offset:14400
	v_fma_f64 v[120:121], v[120:121], v[166:167], -v[137:138]
	ds_read_b128 v[137:140], v149 offset:11520
	v_fma_f64 v[122:123], v[122:123], v[166:167], v[141:142]
	v_fma_f64 v[125:126], v[125:126], v[170:171], -v[143:144]
	ds_read_b128 v[141:144], v149 offset:12480
	v_fma_f64 v[127:128], v[127:128], v[170:171], v[145:146]
	ds_read_b128 v[145:148], v149 offset:13440
	s_waitcnt vmcnt(3) lgkmcnt(2)
	v_mul_f64 v[158:159], v[139:140], v[176:177]
	v_mul_f64 v[160:161], v[137:138], v[176:177]
	v_fma_f64 v[133:134], v[226:227], v[162:163], -v[133:134]
	v_fma_f64 v[135:136], v[228:229], v[162:163], v[135:136]
	s_waitcnt vmcnt(2) lgkmcnt(1)
	v_mul_f64 v[162:163], v[143:144], v[180:181]
	v_mul_f64 v[164:165], v[141:142], v[180:181]
	s_waitcnt vmcnt(1) lgkmcnt(0)
	v_mul_f64 v[166:167], v[147:148], v[184:185]
	v_mul_f64 v[168:169], v[145:146], v[184:185]
	s_waitcnt vmcnt(0)
	v_mul_f64 v[170:171], v[156:157], v[188:189]
	v_mul_f64 v[172:173], v[154:155], v[188:189]
	v_fma_f64 v[137:138], v[137:138], v[174:175], -v[158:159]
	v_fma_f64 v[139:140], v[139:140], v[174:175], v[160:161]
	v_fma_f64 v[141:142], v[141:142], v[178:179], -v[162:163]
	v_fma_f64 v[143:144], v[143:144], v[178:179], v[164:165]
	v_fma_f64 v[145:146], v[145:146], v[182:183], -v[166:167]
	v_fma_f64 v[147:148], v[147:148], v[182:183], v[168:169]
	v_fma_f64 v[154:155], v[154:155], v[186:187], -v[170:171]
	v_fma_f64 v[156:157], v[156:157], v[186:187], v[172:173]
	ds_write_b128 v149, v[129:132] offset:7680
	ds_write_b128 v149, v[133:136] offset:8640
	ds_write_b128 v149, v[120:123] offset:9600
	ds_write_b128 v149, v[125:128] offset:10560
	ds_write_b128 v149, v[137:140] offset:11520
	ds_write_b128 v149, v[141:144] offset:12480
	ds_write_b128 v149, v[145:148] offset:13440
	ds_write_b128 v149, v[154:157] offset:14400
.LBB0_13:
	s_or_b64 exec, exec, s[8:9]
	s_waitcnt lgkmcnt(0)
	s_barrier
	s_and_saveexec_b64 s[8:9], s[0:1]
	s_cbranch_execz .LBB0_15
; %bb.14:
	ds_read_b128 v[96:99], v149
	ds_read_b128 v[100:103], v149 offset:960
	ds_read_b128 v[108:111], v149 offset:1920
	ds_read_b128 v[104:107], v149 offset:2880
	ds_read_b128 v[116:119], v149 offset:3840
	ds_read_b128 v[112:115], v149 offset:4800
	ds_read_b128 v[84:87], v149 offset:5760
	ds_read_b128 v[80:83], v149 offset:6720
	ds_read_b128 v[92:95], v149 offset:7680
	ds_read_b128 v[88:91], v149 offset:8640
	ds_read_b128 v[48:51], v149 offset:9600
	ds_read_b128 v[44:47], v149 offset:10560
	ds_read_b128 v[68:71], v149 offset:11520
	ds_read_b128 v[64:67], v149 offset:12480
	ds_read_b128 v[76:79], v149 offset:13440
	ds_read_b128 v[72:75], v149 offset:14400
.LBB0_15:
	s_or_b64 exec, exec, s[8:9]
	s_waitcnt lgkmcnt(7)
	v_add_f64 v[92:93], v[96:97], -v[92:93]
	v_add_f64 v[94:95], v[98:99], -v[94:95]
	s_waitcnt lgkmcnt(3)
	v_add_f64 v[68:69], v[116:117], -v[68:69]
	v_add_f64 v[70:71], v[118:119], -v[70:71]
	;; [unrolled: 1-line block ×4, first 2 shown]
	s_waitcnt lgkmcnt(1)
	v_add_f64 v[76:77], v[84:85], -v[76:77]
	v_add_f64 v[78:79], v[86:87], -v[78:79]
	v_fma_f64 v[96:97], v[96:97], 2.0, -v[92:93]
	v_fma_f64 v[98:99], v[98:99], 2.0, -v[94:95]
	;; [unrolled: 1-line block ×8, first 2 shown]
	v_add_f64 v[88:89], v[100:101], -v[88:89]
	v_add_f64 v[90:91], v[102:103], -v[90:91]
	;; [unrolled: 1-line block ×6, first 2 shown]
	s_waitcnt lgkmcnt(0)
	v_add_f64 v[72:73], v[80:81], -v[72:73]
	v_add_f64 v[74:75], v[82:83], -v[74:75]
	;; [unrolled: 1-line block ×6, first 2 shown]
	v_fma_f64 v[100:101], v[100:101], 2.0, -v[88:89]
	v_fma_f64 v[102:103], v[102:103], 2.0, -v[90:91]
	;; [unrolled: 1-line block ×8, first 2 shown]
	v_add_f64 v[70:71], v[92:93], v[70:71]
	v_add_f64 v[68:69], v[94:95], -v[68:69]
	v_add_f64 v[78:79], v[78:79], v[48:49]
	v_add_f64 v[76:77], v[50:51], -v[76:77]
	v_fma_f64 v[96:97], v[96:97], 2.0, -v[116:117]
	v_fma_f64 v[98:99], v[98:99], 2.0, -v[118:119]
	;; [unrolled: 1-line block ×4, first 2 shown]
	v_add_f64 v[66:67], v[66:67], v[88:89]
	v_add_f64 v[64:65], v[90:91], -v[64:65]
	v_add_f64 v[74:75], v[74:75], v[44:45]
	v_add_f64 v[72:73], v[46:47], -v[72:73]
	s_mov_b32 s8, 0x667f3bcd
	s_mov_b32 s9, 0xbfe6a09e
	;; [unrolled: 1-line block ×4, first 2 shown]
	v_fma_f64 v[92:93], v[92:93], 2.0, -v[70:71]
	v_fma_f64 v[94:95], v[94:95], 2.0, -v[68:69]
	;; [unrolled: 1-line block ×4, first 2 shown]
	v_add_f64 v[112:113], v[100:101], -v[112:113]
	v_add_f64 v[114:115], v[102:103], -v[114:115]
	;; [unrolled: 1-line block ×4, first 2 shown]
	v_fma_f64 v[88:89], v[88:89], 2.0, -v[66:67]
	v_fma_f64 v[90:91], v[90:91], 2.0, -v[64:65]
	v_fma_f64 v[44:45], v[44:45], 2.0, -v[74:75]
	v_fma_f64 v[46:47], v[46:47], 2.0, -v[72:73]
	v_add_f64 v[125:126], v[96:97], -v[108:109]
	v_add_f64 v[127:128], v[98:99], -v[110:111]
	v_fma_f64 v[108:109], v[78:79], s[10:11], v[70:71]
	v_fma_f64 v[110:111], v[76:77], s[10:11], v[68:69]
	v_fma_f64 v[100:101], v[100:101], 2.0, -v[112:113]
	v_fma_f64 v[102:103], v[102:103], 2.0, -v[114:115]
	;; [unrolled: 1-line block ×4, first 2 shown]
	v_fma_f64 v[120:121], v[48:49], s[8:9], v[92:93]
	v_fma_f64 v[122:123], v[50:51], s[8:9], v[94:95]
	v_add_f64 v[129:130], v[116:117], v[86:87]
	v_add_f64 v[131:132], v[118:119], -v[84:85]
	v_fma_f64 v[133:134], v[76:77], s[10:11], v[108:109]
	v_fma_f64 v[135:136], v[78:79], s[8:9], v[110:111]
	;; [unrolled: 1-line block ×6, first 2 shown]
	v_fma_f64 v[48:49], v[96:97], 2.0, -v[125:126]
	v_fma_f64 v[50:51], v[98:99], 2.0, -v[127:128]
	;; [unrolled: 1-line block ×4, first 2 shown]
	v_fma_f64 v[68:69], v[74:75], s[10:11], v[66:67]
	v_fma_f64 v[70:71], v[72:73], s[10:11], v[64:65]
	v_add_f64 v[108:109], v[100:101], -v[104:105]
	v_add_f64 v[110:111], v[102:103], -v[106:107]
	v_fma_f64 v[137:138], v[46:47], s[10:11], v[84:85]
	v_fma_f64 v[139:140], v[44:45], s[8:9], v[86:87]
	v_add_f64 v[82:83], v[82:83], v[112:113]
	v_add_f64 v[80:81], v[114:115], -v[80:81]
	v_fma_f64 v[76:77], v[92:93], 2.0, -v[120:121]
	v_fma_f64 v[78:79], v[94:95], 2.0, -v[122:123]
	;; [unrolled: 1-line block ×4, first 2 shown]
	v_fma_f64 v[141:142], v[72:73], s[10:11], v[68:69]
	v_fma_f64 v[143:144], v[74:75], s[8:9], v[70:71]
	v_fma_f64 v[44:45], v[100:101], 2.0, -v[108:109]
	v_fma_f64 v[46:47], v[102:103], 2.0, -v[110:111]
	;; [unrolled: 1-line block ×6, first 2 shown]
	s_mov_b32 s16, 0xcf328d46
	s_mov_b32 s17, 0xbfed906b
	v_fma_f64 v[66:67], v[66:67], 2.0, -v[141:142]
	v_fma_f64 v[64:65], v[64:65], 2.0, -v[143:144]
	v_add_f64 v[84:85], v[48:49], -v[44:45]
	v_add_f64 v[86:87], v[50:51], -v[46:47]
	v_fma_f64 v[44:45], v[68:69], s[16:17], v[76:77]
	v_fma_f64 v[46:47], v[70:71], s[16:17], v[78:79]
	v_fma_f64 v[100:101], v[88:89], s[8:9], v[92:93]
	v_fma_f64 v[102:103], v[90:91], s[8:9], v[94:95]
	s_mov_b32 s18, 0xa6aea964
	s_mov_b32 s19, 0x3fd87de2
	;; [unrolled: 1-line block ×4, first 2 shown]
	v_fma_f64 v[112:113], v[66:67], s[20:21], v[96:97]
	v_fma_f64 v[114:115], v[64:65], s[20:21], v[98:99]
	v_fma_f64 v[72:73], v[70:71], s[18:19], v[44:45]
	v_fma_f64 v[74:75], v[68:69], s[20:21], v[46:47]
	v_fma_f64 v[104:105], v[90:91], s[10:11], v[100:101]
	v_fma_f64 v[106:107], v[88:89], s[8:9], v[102:103]
	s_mov_b32 s23, 0x3fed906b
	s_mov_b32 s22, s16
	v_fma_f64 v[100:101], v[64:65], s[22:23], v[112:113]
	v_fma_f64 v[102:103], v[66:67], s[16:17], v[114:115]
	v_fma_f64 v[44:45], v[48:49], 2.0, -v[84:85]
	v_fma_f64 v[46:47], v[50:51], 2.0, -v[86:87]
	v_fma_f64 v[48:49], v[76:77], 2.0, -v[72:73]
	v_fma_f64 v[50:51], v[78:79], 2.0, -v[74:75]
	v_fma_f64 v[68:69], v[92:93], 2.0, -v[104:105]
	v_fma_f64 v[70:71], v[94:95], 2.0, -v[106:107]
	v_fma_f64 v[76:77], v[137:138], s[18:19], v[120:121]
	v_fma_f64 v[78:79], v[139:140], s[18:19], v[122:123]
	;; [unrolled: 1-line block ×6, first 2 shown]
	v_fma_f64 v[64:65], v[96:97], 2.0, -v[100:101]
	v_fma_f64 v[66:67], v[98:99], 2.0, -v[102:103]
	v_add_f64 v[116:117], v[125:126], v[110:111]
	v_add_f64 v[118:119], v[127:128], -v[108:109]
	v_fma_f64 v[112:113], v[139:140], s[22:23], v[76:77]
	v_fma_f64 v[114:115], v[137:138], s[16:17], v[78:79]
	;; [unrolled: 1-line block ×6, first 2 shown]
	v_fma_f64 v[88:89], v[125:126], 2.0, -v[116:117]
	v_fma_f64 v[90:91], v[127:128], 2.0, -v[118:119]
	;; [unrolled: 1-line block ×8, first 2 shown]
	s_barrier
	s_and_saveexec_b64 s[8:9], s[0:1]
	s_cbranch_execz .LBB0_17
; %bb.16:
	v_lshlrev_b32_e32 v120, 4, v152
	ds_write_b128 v120, v[44:47]
	ds_write_b128 v120, v[48:51] offset:16
	ds_write_b128 v120, v[68:71] offset:32
	;; [unrolled: 1-line block ×15, first 2 shown]
.LBB0_17:
	s_or_b64 exec, exec, s[8:9]
	s_waitcnt lgkmcnt(0)
	s_barrier
	s_and_saveexec_b64 s[8:9], s[2:3]
	s_cbranch_execz .LBB0_19
; %bb.18:
	ds_read_b128 v[44:47], v149
	ds_read_b128 v[48:51], v149 offset:1536
	ds_read_b128 v[68:71], v149 offset:3072
	;; [unrolled: 1-line block ×9, first 2 shown]
.LBB0_19:
	s_or_b64 exec, exec, s[8:9]
	s_waitcnt lgkmcnt(0)
	s_barrier
	s_and_saveexec_b64 s[8:9], s[2:3]
	s_cbranch_execz .LBB0_21
; %bb.20:
	v_mul_f64 v[96:97], v[10:11], v[88:89]
	v_mul_f64 v[100:101], v[22:23], v[68:69]
	;; [unrolled: 1-line block ×8, first 2 shown]
	v_fma_f64 v[96:97], v[8:9], v[90:91], -v[96:97]
	v_fma_f64 v[70:71], v[20:21], v[70:71], -v[100:101]
	v_mul_f64 v[90:91], v[30:31], v[74:75]
	v_fma_f64 v[20:21], v[20:21], v[68:69], v[22:23]
	v_fma_f64 v[22:23], v[32:33], v[84:85], v[34:35]
	v_mul_f64 v[34:35], v[18:19], v[78:79]
	v_mul_f64 v[68:69], v[14:15], v[82:83]
	v_fma_f64 v[8:9], v[8:9], v[88:89], v[10:11]
	v_mul_f64 v[88:89], v[6:7], v[66:67]
	v_mul_f64 v[6:7], v[6:7], v[64:65]
	v_mul_f64 v[30:31], v[30:31], v[72:73]
	v_fma_f64 v[10:11], v[24:25], v[92:93], v[26:27]
	v_mul_f64 v[92:93], v[2:3], v[50:51]
	v_fma_f64 v[34:35], v[16:17], v[76:77], v[34:35]
	v_fma_f64 v[68:69], v[12:13], v[80:81], v[68:69]
	v_mul_f64 v[18:19], v[18:19], v[76:77]
	v_fma_f64 v[64:65], v[4:5], v[64:65], v[88:89]
	v_mul_f64 v[14:15], v[14:15], v[80:81]
	v_fma_f64 v[72:73], v[28:29], v[72:73], v[90:91]
	v_fma_f64 v[4:5], v[4:5], v[66:67], -v[6:7]
	v_fma_f64 v[28:29], v[28:29], v[74:75], -v[30:31]
	v_mul_f64 v[2:3], v[2:3], v[48:49]
	v_fma_f64 v[76:77], v[0:1], v[48:49], v[92:93]
	v_add_f64 v[80:81], v[68:69], v[34:35]
	v_fma_f64 v[16:17], v[16:17], v[78:79], -v[18:19]
	v_fma_f64 v[12:13], v[12:13], v[82:83], -v[14:15]
	v_add_f64 v[82:83], v[34:35], -v[68:69]
	s_mov_b32 s2, 0x134454ff
	v_add_f64 v[48:49], v[28:29], v[4:5]
	v_fma_f64 v[0:1], v[0:1], v[50:51], -v[2:3]
	s_mov_b32 s3, 0xbfee6f0e
	v_fma_f64 v[18:19], v[80:81], -0.5, v[76:77]
	v_add_f64 v[74:75], v[4:5], -v[16:17]
	v_add_f64 v[2:3], v[12:13], v[16:17]
	v_add_f64 v[78:79], v[28:29], -v[12:13]
	v_add_f64 v[80:81], v[72:73], v[64:65]
	s_mov_b32 s19, 0x3fee6f0e
	v_fma_f64 v[48:49], v[48:49], -0.5, v[0:1]
	s_mov_b32 s18, s2
	v_fma_f64 v[98:99], v[24:25], v[94:95], -v[98:99]
	v_add_f64 v[50:51], v[64:65], -v[72:73]
	v_fma_f64 v[2:3], v[2:3], -0.5, v[0:1]
	v_add_f64 v[74:75], v[78:79], v[74:75]
	v_fma_f64 v[78:79], v[80:81], -0.5, v[76:77]
	v_add_f64 v[80:81], v[16:17], -v[4:5]
	v_add_f64 v[92:93], v[12:13], -v[28:29]
	v_fma_f64 v[100:101], v[82:83], s[18:19], v[48:49]
	v_fma_f64 v[48:49], v[82:83], s[2:3], v[48:49]
	s_mov_b32 s10, 0x4755a5e
	s_mov_b32 s11, 0xbfe2cf23
	;; [unrolled: 1-line block ×4, first 2 shown]
	v_fma_f64 v[86:87], v[32:33], v[86:87], -v[102:103]
	v_add_f64 v[32:33], v[98:99], v[96:97]
	v_add_f64 v[6:7], v[64:65], -v[34:35]
	v_add_f64 v[14:15], v[72:73], -v[68:69]
	;; [unrolled: 1-line block ×3, first 2 shown]
	v_fma_f64 v[88:89], v[50:51], s[2:3], v[2:3]
	v_add_f64 v[80:81], v[92:93], v[80:81]
	v_fma_f64 v[92:93], v[50:51], s[10:11], v[100:101]
	v_fma_f64 v[48:49], v[50:51], s[20:21], v[48:49]
	;; [unrolled: 1-line block ×3, first 2 shown]
	v_add_f64 v[24:25], v[70:71], -v[96:97]
	v_add_f64 v[26:27], v[86:87], -v[98:99]
	v_add_f64 v[84:85], v[20:21], -v[22:23]
	v_fma_f64 v[32:33], v[32:33], -0.5, v[46:47]
	v_add_f64 v[14:15], v[14:15], v[6:7]
	v_fma_f64 v[6:7], v[30:31], s[18:19], v[18:19]
	v_add_f64 v[66:67], v[16:17], -v[12:13]
	v_fma_f64 v[18:19], v[30:31], s[2:3], v[18:19]
	v_fma_f64 v[50:51], v[82:83], s[20:21], v[50:51]
	v_add_f64 v[0:1], v[4:5], v[0:1]
	v_add_f64 v[90:91], v[86:87], v[70:71]
	s_mov_b32 s16, 0x372fe950
	s_mov_b32 s17, 0x3fd3c6ef
	v_add_f64 v[94:95], v[8:9], -v[10:11]
	v_add_f64 v[24:25], v[26:27], v[24:25]
	v_fma_f64 v[26:27], v[84:85], s[2:3], v[32:33]
	v_fma_f64 v[6:7], v[66:67], s[20:21], v[6:7]
	v_add_f64 v[102:103], v[34:35], -v[64:65]
	v_add_f64 v[104:105], v[68:69], -v[72:73]
	v_fma_f64 v[106:107], v[66:67], s[2:3], v[78:79]
	v_fma_f64 v[78:79], v[66:67], s[18:19], v[78:79]
	;; [unrolled: 1-line block ×4, first 2 shown]
	v_add_f64 v[66:67], v[10:11], v[8:9]
	v_fma_f64 v[4:5], v[74:75], s[16:17], v[50:51]
	v_fma_f64 v[88:89], v[82:83], s[10:11], v[88:89]
	v_add_f64 v[0:1], v[16:17], v[0:1]
	v_fma_f64 v[90:91], v[90:91], -0.5, v[46:47]
	s_mov_b32 s24, 0x9b97f4a8
	s_mov_b32 s25, 0xbfe9e377
	s_mov_b32 s27, 0x3fe9e377
	s_mov_b32 s26, s24
	v_fma_f64 v[26:27], v[94:95], s[10:11], v[26:27]
	v_add_f64 v[100:101], v[96:97], -v[70:71]
	v_add_f64 v[102:103], v[104:105], v[102:103]
	v_fma_f64 v[104:105], v[30:31], s[20:21], v[106:107]
	v_fma_f64 v[106:107], v[14:15], s[16:17], v[6:7]
	v_add_f64 v[46:47], v[46:47], v[70:71]
	v_fma_f64 v[32:33], v[94:95], s[20:21], v[32:33]
	v_fma_f64 v[14:15], v[14:15], s[16:17], v[18:19]
	v_fma_f64 v[18:19], v[66:67], -0.5, v[44:45]
	v_add_f64 v[50:51], v[70:71], -v[86:87]
	v_mul_f64 v[16:17], v[4:5], s[26:27]
	v_add_f64 v[66:67], v[20:21], -v[8:9]
	v_add_f64 v[70:71], v[22:23], -v[10:11]
	v_add_f64 v[82:83], v[22:23], v[20:21]
	v_fma_f64 v[88:89], v[74:75], s[16:17], v[88:89]
	v_add_f64 v[0:1], v[12:13], v[0:1]
	v_add_f64 v[108:109], v[98:99], -v[86:87]
	v_fma_f64 v[110:111], v[94:95], s[18:19], v[90:91]
	v_fma_f64 v[90:91], v[94:95], s[2:3], v[90:91]
	;; [unrolled: 1-line block ×5, first 2 shown]
	v_add_f64 v[12:13], v[70:71], v[66:67]
	v_fma_f64 v[16:17], v[82:83], -0.5, v[44:45]
	v_add_f64 v[70:71], v[8:9], -v[20:21]
	v_add_f64 v[20:21], v[44:45], v[20:21]
	v_add_f64 v[44:45], v[64:65], v[76:77]
	;; [unrolled: 1-line block ×3, first 2 shown]
	v_mul_f64 v[0:1], v[88:89], s[10:11]
	v_add_f64 v[100:101], v[108:109], v[100:101]
	v_fma_f64 v[108:109], v[84:85], s[10:11], v[110:111]
	v_fma_f64 v[90:91], v[84:85], s[20:21], v[90:91]
	;; [unrolled: 1-line block ×3, first 2 shown]
	v_add_f64 v[84:85], v[96:97], -v[98:99]
	v_fma_f64 v[92:93], v[80:81], s[16:17], v[92:93]
	v_add_f64 v[46:47], v[96:97], v[46:47]
	v_add_f64 v[8:9], v[8:9], v[20:21]
	;; [unrolled: 1-line block ×3, first 2 shown]
	v_fma_f64 v[76:77], v[106:107], s[24:25], v[0:1]
	v_fma_f64 v[0:1], v[50:51], s[2:3], v[18:19]
	;; [unrolled: 1-line block ×5, first 2 shown]
	v_add_f64 v[74:75], v[10:11], -v[22:23]
	v_fma_f64 v[64:65], v[84:85], s[2:3], v[16:17]
	v_fma_f64 v[16:17], v[84:85], s[18:19], v[16:17]
	v_fma_f64 v[104:105], v[102:103], s[16:17], v[104:105]
	v_add_f64 v[46:47], v[98:99], v[46:47]
	v_mul_f64 v[44:45], v[92:93], s[2:3]
	v_add_f64 v[8:9], v[10:11], v[8:9]
	v_add_f64 v[10:11], v[68:69], v[20:21]
	v_fma_f64 v[0:1], v[84:85], s[10:11], v[0:1]
	v_mul_f64 v[4:5], v[4:5], s[10:11]
	s_mov_b32 s23, 0xbfd3c6ef
	s_mov_b32 s22, s16
	v_fma_f64 v[30:31], v[102:103], s[16:17], v[30:31]
	v_mul_f64 v[80:81], v[48:49], s[16:17]
	v_add_f64 v[18:19], v[74:75], v[70:71]
	v_fma_f64 v[16:17], v[50:51], s[10:11], v[16:17]
	v_mul_f64 v[48:49], v[48:49], s[2:3]
	v_mul_f64 v[6:7], v[88:89], s[24:25]
	;; [unrolled: 1-line block ×3, first 2 shown]
	v_fma_f64 v[34:35], v[50:51], s[20:21], v[64:65]
	v_add_f64 v[46:47], v[86:87], v[46:47]
	v_fma_f64 v[50:51], v[104:105], s[22:23], v[44:45]
	v_add_f64 v[44:45], v[22:23], v[8:9]
	v_add_f64 v[72:73], v[72:73], v[10:11]
	v_fma_f64 v[68:69], v[12:13], s[16:17], v[0:1]
	v_fma_f64 v[70:71], v[14:15], s[26:27], v[4:5]
	v_fma_f64 v[78:79], v[100:101], s[16:17], v[90:91]
	v_fma_f64 v[80:81], v[30:31], s[18:19], v[80:81]
	v_fma_f64 v[64:65], v[18:19], s[16:17], v[16:17]
	v_fma_f64 v[48:49], v[30:31], s[16:17], v[48:49]
	v_fma_f64 v[112:113], v[106:107], s[20:21], v[6:7]
	v_fma_f64 v[108:109], v[100:101], s[16:17], v[108:109]
	v_fma_f64 v[110:111], v[104:105], s[18:19], v[110:111]
	v_fma_f64 v[20:21], v[18:19], s[16:17], v[34:35]
	v_fma_f64 v[66:67], v[12:13], s[16:17], v[66:67]
	v_add_f64 v[18:19], v[46:47], -v[28:29]
	v_add_f64 v[16:17], v[44:45], -v[72:73]
	v_add_f64 v[46:47], v[46:47], v[28:29]
	v_add_f64 v[44:45], v[44:45], v[72:73]
	v_add_f64 v[14:15], v[24:25], -v[32:33]
	v_add_f64 v[34:35], v[24:25], v[32:33]
	v_add_f64 v[32:33], v[68:69], v[70:71]
	;; [unrolled: 1-line block ×4, first 2 shown]
	v_add_f64 v[2:3], v[26:27], -v[112:113]
	v_add_f64 v[22:23], v[26:27], v[112:113]
	v_add_f64 v[26:27], v[108:109], v[110:111]
	;; [unrolled: 1-line block ×3, first 2 shown]
	v_add_f64 v[4:5], v[20:21], -v[50:51]
	v_add_f64 v[20:21], v[66:67], v[76:77]
	v_add_f64 v[8:9], v[64:65], -v[48:49]
	v_mul_u32_u24_e32 v48, 0xa0, v153
	v_add_f64 v[12:13], v[68:69], -v[70:71]
	v_or_b32_e32 v48, v48, v151
	v_add_f64 v[10:11], v[78:79], -v[80:81]
	v_lshlrev_b32_e32 v48, 4, v48
	v_add_f64 v[6:7], v[108:109], -v[110:111]
	v_add_f64 v[0:1], v[66:67], -v[76:77]
	ds_write_b128 v48, v[44:47]
	ds_write_b128 v48, v[32:35] offset:256
	ds_write_b128 v48, v[28:31] offset:512
	;; [unrolled: 1-line block ×9, first 2 shown]
.LBB0_21:
	s_or_b64 exec, exec, s[8:9]
	s_waitcnt lgkmcnt(0)
	s_barrier
	ds_read_b128 v[0:3], v149 offset:5120
	ds_read_b128 v[4:7], v149 offset:10240
	;; [unrolled: 1-line block ×4, first 2 shown]
	ds_read_b128 v[16:19], v149
	ds_read_b128 v[20:23], v149 offset:2560
	s_waitcnt lgkmcnt(5)
	v_mul_f64 v[24:25], v[54:55], v[2:3]
	s_waitcnt lgkmcnt(4)
	v_mul_f64 v[26:27], v[62:63], v[6:7]
	v_mul_f64 v[28:29], v[54:55], v[0:1]
	s_waitcnt lgkmcnt(3)
	v_mul_f64 v[30:31], v[42:43], v[8:9]
	s_waitcnt lgkmcnt(0)
	v_mul_f64 v[32:33], v[38:39], v[20:21]
	s_mov_b32 s2, 0xe8584caa
	s_mov_b32 s3, 0xbfebb67a
	;; [unrolled: 1-line block ×3, first 2 shown]
	v_fma_f64 v[0:1], v[52:53], v[0:1], v[24:25]
	v_fma_f64 v[24:25], v[60:61], v[4:5], v[26:27]
	v_mul_f64 v[4:5], v[62:63], v[4:5]
	v_mul_f64 v[26:27], v[58:59], v[12:13]
	v_fma_f64 v[2:3], v[52:53], v[2:3], -v[28:29]
	v_mul_f64 v[28:29], v[42:43], v[10:11]
	v_fma_f64 v[10:11], v[40:41], v[10:11], -v[30:31]
	v_mul_f64 v[30:31], v[58:59], v[14:15]
	s_mov_b32 s8, s2
	v_add_f64 v[34:35], v[0:1], v[24:25]
	v_fma_f64 v[4:5], v[60:61], v[6:7], -v[4:5]
	v_fma_f64 v[6:7], v[56:57], v[14:15], -v[26:27]
	v_mul_f64 v[14:15], v[38:39], v[22:23]
	v_fma_f64 v[22:23], v[36:37], v[22:23], -v[32:33]
	v_add_f64 v[26:27], v[16:17], v[0:1]
	v_fma_f64 v[8:9], v[40:41], v[8:9], v[28:29]
	v_fma_f64 v[12:13], v[56:57], v[12:13], v[30:31]
	v_fma_f64 v[16:17], v[34:35], -0.5, v[16:17]
	v_add_f64 v[28:29], v[2:3], -v[4:5]
	v_add_f64 v[30:31], v[10:11], v[6:7]
	v_fma_f64 v[14:15], v[36:37], v[20:21], v[14:15]
	v_add_f64 v[36:37], v[18:19], v[2:3]
	v_add_f64 v[20:21], v[26:27], v[24:25]
	;; [unrolled: 1-line block ×4, first 2 shown]
	v_add_f64 v[34:35], v[8:9], -v[12:13]
	v_fma_f64 v[32:33], v[28:29], s[2:3], v[16:17]
	v_fma_f64 v[30:31], v[30:31], -0.5, v[22:23]
	v_add_f64 v[38:39], v[10:11], -v[6:7]
	v_fma_f64 v[28:29], v[28:29], s[8:9], v[16:17]
	v_add_f64 v[10:11], v[22:23], v[10:11]
	v_fma_f64 v[2:3], v[2:3], -0.5, v[18:19]
	v_fma_f64 v[26:27], v[26:27], -0.5, v[14:15]
	v_add_f64 v[0:1], v[0:1], -v[24:25]
	v_fma_f64 v[16:17], v[34:35], s[8:9], v[30:31]
	v_fma_f64 v[30:31], v[34:35], s[2:3], v[30:31]
	v_add_f64 v[34:35], v[36:37], v[4:5]
	v_add_f64 v[4:5], v[14:15], v[8:9]
	;; [unrolled: 1-line block ×3, first 2 shown]
	v_fma_f64 v[8:9], v[38:39], s[2:3], v[26:27]
	v_fma_f64 v[14:15], v[38:39], s[8:9], v[26:27]
	;; [unrolled: 1-line block ×3, first 2 shown]
	v_mul_f64 v[18:19], v[16:17], s[2:3]
	v_mul_f64 v[16:17], v[16:17], 0.5
	v_mul_f64 v[24:25], v[30:31], s[2:3]
	v_mul_f64 v[22:23], v[30:31], -0.5
	v_add_f64 v[12:13], v[4:5], v[12:13]
	v_fma_f64 v[30:31], v[0:1], s[2:3], v[2:3]
	v_add_f64 v[2:3], v[34:35], v[36:37]
	v_fma_f64 v[18:19], v[8:9], 0.5, v[18:19]
	v_fma_f64 v[38:39], v[8:9], s[8:9], v[16:17]
	v_fma_f64 v[24:25], v[14:15], -0.5, v[24:25]
	v_fma_f64 v[22:23], v[14:15], s[8:9], v[22:23]
	v_add_f64 v[0:1], v[20:21], v[12:13]
	v_add_f64 v[12:13], v[20:21], -v[12:13]
	v_add_f64 v[14:15], v[34:35], -v[36:37]
	v_add_f64 v[4:5], v[32:33], v[18:19]
	v_add_f64 v[6:7], v[26:27], v[38:39]
	;; [unrolled: 1-line block ×4, first 2 shown]
	v_add_f64 v[16:17], v[32:33], -v[18:19]
	v_add_f64 v[18:19], v[26:27], -v[38:39]
	v_add_f64 v[20:21], v[28:29], -v[24:25]
	v_add_f64 v[22:23], v[30:31], -v[22:23]
	ds_write_b128 v149, v[0:3]
	ds_write_b128 v149, v[4:7] offset:2560
	ds_write_b128 v149, v[8:11] offset:5120
	;; [unrolled: 1-line block ×5, first 2 shown]
	s_waitcnt lgkmcnt(0)
	s_barrier
	s_and_b64 exec, exec, s[0:1]
	s_cbranch_execz .LBB0_23
; %bb.22:
	global_load_dwordx4 v[0:3], v149, s[14:15]
	global_load_dwordx4 v[4:7], v149, s[14:15] offset:960
	global_load_dwordx4 v[8:11], v149, s[14:15] offset:1920
	global_load_dwordx4 v[12:15], v149, s[14:15] offset:2880
	global_load_dwordx4 v[16:19], v149, s[14:15] offset:3840
	v_mad_u64_u32 v[72:73], s[0:1], s6, v124, 0
	v_mov_b32_e32 v20, s15
	v_add_co_u32_e32 v90, vcc, s14, v149
	s_movk_i32 s0, 0x1000
	v_addc_co_u32_e32 v91, vcc, 0, v20, vcc
	v_add_co_u32_e32 v60, vcc, s0, v90
	v_addc_co_u32_e32 v61, vcc, 0, v91, vcc
	global_load_dwordx4 v[20:23], v[60:61], off offset:704
	ds_read_b128 v[24:27], v149
	ds_read_b128 v[28:31], v149 offset:960
	ds_read_b128 v[32:35], v149 offset:1920
	;; [unrolled: 1-line block ×5, first 2 shown]
	global_load_dwordx4 v[48:51], v[60:61], off offset:1664
	global_load_dwordx4 v[52:55], v[60:61], off offset:2624
	;; [unrolled: 1-line block ×3, first 2 shown]
	v_mad_u64_u32 v[74:75], s[2:3], s4, v150, 0
	s_mul_hi_u32 s6, s4, 0x3c0
	s_mul_i32 s2, s4, 0x3c0
	s_movk_i32 s4, 0x2000
	s_mul_i32 s3, s5, 0x3c0
	v_add_co_u32_e32 v76, vcc, s4, v90
	v_mov_b32_e32 v60, v73
	v_mov_b32_e32 v61, v75
	s_add_i32 s3, s6, s3
	v_addc_co_u32_e32 v77, vcc, 0, v91, vcc
	v_mad_u64_u32 v[78:79], s[6:7], s7, v124, v[60:61]
	v_mad_u64_u32 v[79:80], s[4:5], s5, v150, v[61:62]
	global_load_dwordx4 v[60:63], v[76:77], off offset:448
	global_load_dwordx4 v[64:67], v[76:77], off offset:1408
	;; [unrolled: 1-line block ×3, first 2 shown]
	v_mov_b32_e32 v73, v78
	v_lshlrev_b64 v[72:73], 4, v[72:73]
	v_mov_b32_e32 v75, v79
	v_mov_b32_e32 v81, s13
	v_lshlrev_b64 v[74:75], 4, v[74:75]
	v_add_co_u32_e32 v72, vcc, s12, v72
	v_addc_co_u32_e32 v73, vcc, v81, v73, vcc
	v_add_co_u32_e32 v72, vcc, v72, v74
	v_addc_co_u32_e32 v73, vcc, v73, v75, vcc
	v_mov_b32_e32 v82, s3
	v_add_co_u32_e32 v74, vcc, s2, v72
	v_addc_co_u32_e32 v75, vcc, v73, v82, vcc
	v_mov_b32_e32 v83, s3
	v_add_co_u32_e32 v78, vcc, s2, v74
	v_addc_co_u32_e32 v79, vcc, v75, v83, vcc
	s_mov_b32 s0, 0x11111111
	s_mov_b32 s1, 0x3f511111
	v_mov_b32_e32 v92, s3
	s_movk_i32 s4, 0x3000
	s_waitcnt vmcnt(11) lgkmcnt(5)
	v_mul_f64 v[80:81], v[26:27], v[2:3]
	v_mul_f64 v[2:3], v[24:25], v[2:3]
	s_waitcnt vmcnt(10) lgkmcnt(4)
	v_mul_f64 v[82:83], v[30:31], v[6:7]
	v_mul_f64 v[6:7], v[28:29], v[6:7]
	;; [unrolled: 3-line block ×4, first 2 shown]
	v_fma_f64 v[24:25], v[24:25], v[0:1], v[80:81]
	v_fma_f64 v[2:3], v[0:1], v[26:27], -v[2:3]
	v_fma_f64 v[26:27], v[28:29], v[4:5], v[82:83]
	v_fma_f64 v[6:7], v[4:5], v[30:31], -v[6:7]
	;; [unrolled: 2-line block ×3, first 2 shown]
	s_waitcnt vmcnt(7) lgkmcnt(1)
	v_mul_f64 v[88:89], v[42:43], v[18:19]
	v_mul_f64 v[18:19], v[40:41], v[18:19]
	v_fma_f64 v[30:31], v[36:37], v[12:13], v[86:87]
	v_fma_f64 v[14:15], v[12:13], v[38:39], -v[14:15]
	v_mul_f64 v[0:1], v[24:25], s[0:1]
	v_mul_f64 v[2:3], v[2:3], s[0:1]
	;; [unrolled: 1-line block ×6, first 2 shown]
	s_waitcnt vmcnt(6) lgkmcnt(0)
	v_mul_f64 v[24:25], v[46:47], v[22:23]
	v_fma_f64 v[26:27], v[40:41], v[16:17], v[88:89]
	v_fma_f64 v[16:17], v[16:17], v[42:43], -v[18:19]
	v_mul_f64 v[12:13], v[30:31], s[0:1]
	v_mul_f64 v[14:15], v[14:15], s[0:1]
	global_store_dwordx4 v[72:73], v[0:3], off
	global_store_dwordx4 v[74:75], v[4:7], off
	global_store_dwordx4 v[78:79], v[8:11], off
	ds_read_b128 v[4:7], v149 offset:5760
	v_mul_f64 v[8:9], v[44:45], v[22:23]
	v_add_co_u32_e32 v18, vcc, s2, v78
	v_addc_co_u32_e32 v19, vcc, v79, v92, vcc
	global_store_dwordx4 v[18:19], v[12:15], off
	v_mul_f64 v[0:1], v[26:27], s[0:1]
	v_mul_f64 v[2:3], v[16:17], s[0:1]
	v_fma_f64 v[12:13], v[44:45], v[20:21], v[24:25]
	v_fma_f64 v[14:15], v[20:21], v[46:47], -v[8:9]
	ds_read_b128 v[8:11], v149 offset:6720
	s_waitcnt vmcnt(9) lgkmcnt(1)
	v_mul_f64 v[16:17], v[6:7], v[50:51]
	v_mul_f64 v[20:21], v[4:5], v[50:51]
	v_mov_b32_e32 v22, s3
	v_add_co_u32_e32 v18, vcc, s2, v18
	v_addc_co_u32_e32 v19, vcc, v19, v22, vcc
	global_store_dwordx4 v[18:19], v[0:3], off
	v_fma_f64 v[4:5], v[4:5], v[48:49], v[16:17]
	v_mul_f64 v[0:1], v[12:13], s[0:1]
	v_mul_f64 v[2:3], v[14:15], s[0:1]
	v_fma_f64 v[6:7], v[48:49], v[6:7], -v[20:21]
	s_waitcnt vmcnt(9) lgkmcnt(0)
	v_mul_f64 v[12:13], v[10:11], v[54:55]
	v_mul_f64 v[14:15], v[8:9], v[54:55]
	v_add_co_u32_e32 v16, vcc, s2, v18
	v_addc_co_u32_e32 v17, vcc, v19, v22, vcc
	global_store_dwordx4 v[16:17], v[0:3], off
	v_add_co_u32_e32 v16, vcc, s2, v16
	v_mul_f64 v[0:1], v[4:5], s[0:1]
	v_mul_f64 v[2:3], v[6:7], s[0:1]
	ds_read_b128 v[4:7], v149 offset:7680
	v_fma_f64 v[12:13], v[8:9], v[52:53], v[12:13]
	v_fma_f64 v[14:15], v[52:53], v[10:11], -v[14:15]
	ds_read_b128 v[8:11], v149 offset:8640
	v_addc_co_u32_e32 v17, vcc, v17, v22, vcc
	s_waitcnt vmcnt(9) lgkmcnt(1)
	v_mul_f64 v[18:19], v[6:7], v[58:59]
	v_mul_f64 v[20:21], v[4:5], v[58:59]
	global_store_dwordx4 v[16:17], v[0:3], off
	v_add_co_u32_e32 v16, vcc, s2, v16
	v_mul_f64 v[0:1], v[12:13], s[0:1]
	v_mul_f64 v[2:3], v[14:15], s[0:1]
	s_waitcnt vmcnt(9) lgkmcnt(0)
	v_mul_f64 v[12:13], v[10:11], v[62:63]
	v_fma_f64 v[4:5], v[4:5], v[56:57], v[18:19]
	v_fma_f64 v[6:7], v[56:57], v[6:7], -v[20:21]
	v_mul_f64 v[14:15], v[8:9], v[62:63]
	v_addc_co_u32_e32 v17, vcc, v17, v22, vcc
	v_mov_b32_e32 v18, s3
	global_store_dwordx4 v[16:17], v[0:3], off
	v_fma_f64 v[12:13], v[8:9], v[60:61], v[12:13]
	v_mul_f64 v[0:1], v[4:5], s[0:1]
	v_mul_f64 v[2:3], v[6:7], s[0:1]
	v_fma_f64 v[14:15], v[60:61], v[10:11], -v[14:15]
	ds_read_b128 v[4:7], v149 offset:9600
	ds_read_b128 v[8:11], v149 offset:10560
	v_add_co_u32_e32 v16, vcc, s2, v16
	v_addc_co_u32_e32 v17, vcc, v17, v18, vcc
	s_waitcnt vmcnt(9) lgkmcnt(1)
	v_mul_f64 v[18:19], v[6:7], v[66:67]
	v_mul_f64 v[20:21], v[4:5], v[66:67]
	s_waitcnt vmcnt(8) lgkmcnt(0)
	v_mul_f64 v[22:23], v[10:11], v[70:71]
	v_mul_f64 v[24:25], v[8:9], v[70:71]
	global_store_dwordx4 v[16:17], v[0:3], off
	v_fma_f64 v[4:5], v[4:5], v[64:65], v[18:19]
	v_mul_f64 v[0:1], v[12:13], s[0:1]
	v_mul_f64 v[2:3], v[14:15], s[0:1]
	v_fma_f64 v[6:7], v[64:65], v[6:7], -v[20:21]
	v_fma_f64 v[8:9], v[8:9], v[68:69], v[22:23]
	v_fma_f64 v[10:11], v[68:69], v[10:11], -v[24:25]
	v_mov_b32_e32 v13, s3
	v_add_co_u32_e32 v12, vcc, s2, v16
	v_addc_co_u32_e32 v13, vcc, v17, v13, vcc
	global_store_dwordx4 v[12:13], v[0:3], off
	v_mov_b32_e32 v14, s3
	v_mul_f64 v[0:1], v[4:5], s[0:1]
	v_mul_f64 v[2:3], v[6:7], s[0:1]
	;; [unrolled: 1-line block ×4, first 2 shown]
	v_add_co_u32_e32 v8, vcc, s2, v12
	v_addc_co_u32_e32 v9, vcc, v13, v14, vcc
	v_add_co_u32_e32 v12, vcc, s2, v8
	global_store_dwordx4 v[8:9], v[0:3], off
	s_nop 0
	v_mov_b32_e32 v0, s3
	v_addc_co_u32_e32 v13, vcc, v9, v0, vcc
	global_store_dwordx4 v[12:13], v[4:7], off
	global_load_dwordx4 v[0:3], v[76:77], off offset:3328
	ds_read_b128 v[4:7], v149 offset:11520
	ds_read_b128 v[8:11], v149 offset:12480
	s_waitcnt vmcnt(0) lgkmcnt(1)
	v_mul_f64 v[14:15], v[6:7], v[2:3]
	v_mul_f64 v[2:3], v[4:5], v[2:3]
	v_fma_f64 v[4:5], v[4:5], v[0:1], v[14:15]
	v_fma_f64 v[2:3], v[0:1], v[6:7], -v[2:3]
	v_mul_f64 v[0:1], v[4:5], s[0:1]
	v_mul_f64 v[2:3], v[2:3], s[0:1]
	v_mov_b32_e32 v5, s3
	v_add_co_u32_e32 v4, vcc, s2, v12
	v_addc_co_u32_e32 v5, vcc, v13, v5, vcc
	v_add_co_u32_e32 v12, vcc, s4, v90
	global_store_dwordx4 v[4:5], v[0:3], off
	v_addc_co_u32_e32 v13, vcc, 0, v91, vcc
	global_load_dwordx4 v[0:3], v[12:13], off offset:192
	v_add_co_u32_e32 v14, vcc, s2, v4
	s_waitcnt vmcnt(0) lgkmcnt(0)
	v_mul_f64 v[6:7], v[10:11], v[2:3]
	v_mul_f64 v[2:3], v[8:9], v[2:3]
	v_fma_f64 v[6:7], v[8:9], v[0:1], v[6:7]
	v_fma_f64 v[2:3], v[0:1], v[10:11], -v[2:3]
	v_mul_f64 v[0:1], v[6:7], s[0:1]
	v_mul_f64 v[2:3], v[2:3], s[0:1]
	v_mov_b32_e32 v6, s3
	v_addc_co_u32_e32 v15, vcc, v5, v6, vcc
	global_store_dwordx4 v[14:15], v[0:3], off
	global_load_dwordx4 v[0:3], v[12:13], off offset:1152
	ds_read_b128 v[4:7], v149 offset:13440
	ds_read_b128 v[8:11], v149 offset:14400
	s_waitcnt vmcnt(0) lgkmcnt(1)
	v_mul_f64 v[16:17], v[6:7], v[2:3]
	v_mul_f64 v[2:3], v[4:5], v[2:3]
	v_fma_f64 v[4:5], v[4:5], v[0:1], v[16:17]
	v_fma_f64 v[2:3], v[0:1], v[6:7], -v[2:3]
	v_mul_f64 v[0:1], v[4:5], s[0:1]
	v_mul_f64 v[2:3], v[2:3], s[0:1]
	v_mov_b32_e32 v5, s3
	v_add_co_u32_e32 v4, vcc, s2, v14
	v_addc_co_u32_e32 v5, vcc, v15, v5, vcc
	global_store_dwordx4 v[4:5], v[0:3], off
	global_load_dwordx4 v[0:3], v[12:13], off offset:2112
	v_add_co_u32_e32 v4, vcc, s2, v4
	s_waitcnt vmcnt(0) lgkmcnt(0)
	v_mul_f64 v[6:7], v[10:11], v[2:3]
	v_mul_f64 v[2:3], v[8:9], v[2:3]
	v_fma_f64 v[6:7], v[8:9], v[0:1], v[6:7]
	v_fma_f64 v[2:3], v[0:1], v[10:11], -v[2:3]
	v_mul_f64 v[0:1], v[6:7], s[0:1]
	v_mul_f64 v[2:3], v[2:3], s[0:1]
	v_mov_b32_e32 v6, s3
	v_addc_co_u32_e32 v5, vcc, v5, v6, vcc
	global_store_dwordx4 v[4:5], v[0:3], off
.LBB0_23:
	s_endpgm
	.section	.rodata,"a",@progbits
	.p2align	6, 0x0
	.amdhsa_kernel bluestein_single_fwd_len960_dim1_dp_op_CI_CI
		.amdhsa_group_segment_fixed_size 15360
		.amdhsa_private_segment_fixed_size 0
		.amdhsa_kernarg_size 104
		.amdhsa_user_sgpr_count 6
		.amdhsa_user_sgpr_private_segment_buffer 1
		.amdhsa_user_sgpr_dispatch_ptr 0
		.amdhsa_user_sgpr_queue_ptr 0
		.amdhsa_user_sgpr_kernarg_segment_ptr 1
		.amdhsa_user_sgpr_dispatch_id 0
		.amdhsa_user_sgpr_flat_scratch_init 0
		.amdhsa_user_sgpr_private_segment_size 0
		.amdhsa_uses_dynamic_stack 0
		.amdhsa_system_sgpr_private_segment_wavefront_offset 0
		.amdhsa_system_sgpr_workgroup_id_x 1
		.amdhsa_system_sgpr_workgroup_id_y 0
		.amdhsa_system_sgpr_workgroup_id_z 0
		.amdhsa_system_sgpr_workgroup_info 0
		.amdhsa_system_vgpr_workitem_id 0
		.amdhsa_next_free_vgpr 248
		.amdhsa_next_free_sgpr 28
		.amdhsa_reserve_vcc 1
		.amdhsa_reserve_flat_scratch 0
		.amdhsa_float_round_mode_32 0
		.amdhsa_float_round_mode_16_64 0
		.amdhsa_float_denorm_mode_32 3
		.amdhsa_float_denorm_mode_16_64 3
		.amdhsa_dx10_clamp 1
		.amdhsa_ieee_mode 1
		.amdhsa_fp16_overflow 0
		.amdhsa_exception_fp_ieee_invalid_op 0
		.amdhsa_exception_fp_denorm_src 0
		.amdhsa_exception_fp_ieee_div_zero 0
		.amdhsa_exception_fp_ieee_overflow 0
		.amdhsa_exception_fp_ieee_underflow 0
		.amdhsa_exception_fp_ieee_inexact 0
		.amdhsa_exception_int_div_zero 0
	.end_amdhsa_kernel
	.text
.Lfunc_end0:
	.size	bluestein_single_fwd_len960_dim1_dp_op_CI_CI, .Lfunc_end0-bluestein_single_fwd_len960_dim1_dp_op_CI_CI
                                        ; -- End function
	.section	.AMDGPU.csdata,"",@progbits
; Kernel info:
; codeLenInByte = 12428
; NumSgprs: 32
; NumVgprs: 248
; ScratchSize: 0
; MemoryBound: 0
; FloatMode: 240
; IeeeMode: 1
; LDSByteSize: 15360 bytes/workgroup (compile time only)
; SGPRBlocks: 3
; VGPRBlocks: 61
; NumSGPRsForWavesPerEU: 32
; NumVGPRsForWavesPerEU: 248
; Occupancy: 1
; WaveLimiterHint : 1
; COMPUTE_PGM_RSRC2:SCRATCH_EN: 0
; COMPUTE_PGM_RSRC2:USER_SGPR: 6
; COMPUTE_PGM_RSRC2:TRAP_HANDLER: 0
; COMPUTE_PGM_RSRC2:TGID_X_EN: 1
; COMPUTE_PGM_RSRC2:TGID_Y_EN: 0
; COMPUTE_PGM_RSRC2:TGID_Z_EN: 0
; COMPUTE_PGM_RSRC2:TIDIG_COMP_CNT: 0
	.type	__hip_cuid_6d06974c73f14cc7,@object ; @__hip_cuid_6d06974c73f14cc7
	.section	.bss,"aw",@nobits
	.globl	__hip_cuid_6d06974c73f14cc7
__hip_cuid_6d06974c73f14cc7:
	.byte	0                               ; 0x0
	.size	__hip_cuid_6d06974c73f14cc7, 1

	.ident	"AMD clang version 19.0.0git (https://github.com/RadeonOpenCompute/llvm-project roc-6.4.0 25133 c7fe45cf4b819c5991fe208aaa96edf142730f1d)"
	.section	".note.GNU-stack","",@progbits
	.addrsig
	.addrsig_sym __hip_cuid_6d06974c73f14cc7
	.amdgpu_metadata
---
amdhsa.kernels:
  - .args:
      - .actual_access:  read_only
        .address_space:  global
        .offset:         0
        .size:           8
        .value_kind:     global_buffer
      - .actual_access:  read_only
        .address_space:  global
        .offset:         8
        .size:           8
        .value_kind:     global_buffer
      - .actual_access:  read_only
        .address_space:  global
        .offset:         16
        .size:           8
        .value_kind:     global_buffer
      - .actual_access:  read_only
        .address_space:  global
        .offset:         24
        .size:           8
        .value_kind:     global_buffer
      - .actual_access:  read_only
        .address_space:  global
        .offset:         32
        .size:           8
        .value_kind:     global_buffer
      - .offset:         40
        .size:           8
        .value_kind:     by_value
      - .address_space:  global
        .offset:         48
        .size:           8
        .value_kind:     global_buffer
      - .address_space:  global
        .offset:         56
        .size:           8
        .value_kind:     global_buffer
      - .address_space:  global
        .offset:         64
        .size:           8
        .value_kind:     global_buffer
      - .address_space:  global
        .offset:         72
        .size:           8
        .value_kind:     global_buffer
      - .offset:         80
        .size:           4
        .value_kind:     by_value
      - .address_space:  global
        .offset:         88
        .size:           8
        .value_kind:     global_buffer
      - .address_space:  global
        .offset:         96
        .size:           8
        .value_kind:     global_buffer
    .group_segment_fixed_size: 15360
    .kernarg_segment_align: 8
    .kernarg_segment_size: 104
    .language:       OpenCL C
    .language_version:
      - 2
      - 0
    .max_flat_workgroup_size: 160
    .name:           bluestein_single_fwd_len960_dim1_dp_op_CI_CI
    .private_segment_fixed_size: 0
    .sgpr_count:     32
    .sgpr_spill_count: 0
    .symbol:         bluestein_single_fwd_len960_dim1_dp_op_CI_CI.kd
    .uniform_work_group_size: 1
    .uses_dynamic_stack: false
    .vgpr_count:     248
    .vgpr_spill_count: 0
    .wavefront_size: 64
amdhsa.target:   amdgcn-amd-amdhsa--gfx906
amdhsa.version:
  - 1
  - 2
...

	.end_amdgpu_metadata
